;; amdgpu-corpus repo=ROCm/rocFFT kind=compiled arch=gfx1100 opt=O3
	.text
	.amdgcn_target "amdgcn-amd-amdhsa--gfx1100"
	.amdhsa_code_object_version 6
	.protected	fft_rtc_back_len672_factors_2_2_2_2_2_3_7_wgs_56_tpt_56_halfLds_half_ip_CI_unitstride_sbrr_dirReg ; -- Begin function fft_rtc_back_len672_factors_2_2_2_2_2_3_7_wgs_56_tpt_56_halfLds_half_ip_CI_unitstride_sbrr_dirReg
	.globl	fft_rtc_back_len672_factors_2_2_2_2_2_3_7_wgs_56_tpt_56_halfLds_half_ip_CI_unitstride_sbrr_dirReg
	.p2align	8
	.type	fft_rtc_back_len672_factors_2_2_2_2_2_3_7_wgs_56_tpt_56_halfLds_half_ip_CI_unitstride_sbrr_dirReg,@function
fft_rtc_back_len672_factors_2_2_2_2_2_3_7_wgs_56_tpt_56_halfLds_half_ip_CI_unitstride_sbrr_dirReg: ; @fft_rtc_back_len672_factors_2_2_2_2_2_3_7_wgs_56_tpt_56_halfLds_half_ip_CI_unitstride_sbrr_dirReg
; %bb.0:
	s_clause 0x2
	s_load_b128 s[4:7], s[0:1], 0x0
	s_load_b64 s[8:9], s[0:1], 0x50
	s_load_b64 s[10:11], s[0:1], 0x18
	v_mul_u32_u24_e32 v1, 0x493, v0
	v_mov_b32_e32 v3, 0
	v_mov_b32_e32 v4, 0
	s_delay_alu instid0(VALU_DEP_3) | instskip(SKIP_1) | instid1(VALU_DEP_1)
	v_lshrrev_b32_e32 v2, 16, v1
	v_mov_b32_e32 v1, 0
	v_dual_mov_b32 v6, v1 :: v_dual_add_nc_u32 v5, s15, v2
	s_waitcnt lgkmcnt(0)
	v_cmp_lt_u64_e64 s2, s[6:7], 2
	s_delay_alu instid0(VALU_DEP_1)
	s_and_b32 vcc_lo, exec_lo, s2
	s_cbranch_vccnz .LBB0_8
; %bb.1:
	s_load_b64 s[2:3], s[0:1], 0x10
	v_mov_b32_e32 v3, 0
	s_add_u32 s12, s10, 8
	v_mov_b32_e32 v4, 0
	s_addc_u32 s13, s11, 0
	s_mov_b64 s[16:17], 1
	s_waitcnt lgkmcnt(0)
	s_add_u32 s14, s2, 8
	s_addc_u32 s15, s3, 0
.LBB0_2:                                ; =>This Inner Loop Header: Depth=1
	s_load_b64 s[18:19], s[14:15], 0x0
                                        ; implicit-def: $vgpr7_vgpr8
	s_mov_b32 s2, exec_lo
	s_waitcnt lgkmcnt(0)
	v_or_b32_e32 v2, s19, v6
	s_delay_alu instid0(VALU_DEP_1)
	v_cmpx_ne_u64_e32 0, v[1:2]
	s_xor_b32 s3, exec_lo, s2
	s_cbranch_execz .LBB0_4
; %bb.3:                                ;   in Loop: Header=BB0_2 Depth=1
	v_cvt_f32_u32_e32 v2, s18
	v_cvt_f32_u32_e32 v7, s19
	s_sub_u32 s2, 0, s18
	s_subb_u32 s20, 0, s19
	s_delay_alu instid0(VALU_DEP_1) | instskip(NEXT) | instid1(VALU_DEP_1)
	v_fmac_f32_e32 v2, 0x4f800000, v7
	v_rcp_f32_e32 v2, v2
	s_waitcnt_depctr 0xfff
	v_mul_f32_e32 v2, 0x5f7ffffc, v2
	s_delay_alu instid0(VALU_DEP_1) | instskip(NEXT) | instid1(VALU_DEP_1)
	v_mul_f32_e32 v7, 0x2f800000, v2
	v_trunc_f32_e32 v7, v7
	s_delay_alu instid0(VALU_DEP_1) | instskip(SKIP_1) | instid1(VALU_DEP_2)
	v_fmac_f32_e32 v2, 0xcf800000, v7
	v_cvt_u32_f32_e32 v7, v7
	v_cvt_u32_f32_e32 v2, v2
	s_delay_alu instid0(VALU_DEP_2) | instskip(NEXT) | instid1(VALU_DEP_2)
	v_mul_lo_u32 v8, s2, v7
	v_mul_hi_u32 v9, s2, v2
	v_mul_lo_u32 v10, s20, v2
	s_delay_alu instid0(VALU_DEP_2) | instskip(SKIP_1) | instid1(VALU_DEP_2)
	v_add_nc_u32_e32 v8, v9, v8
	v_mul_lo_u32 v9, s2, v2
	v_add_nc_u32_e32 v8, v8, v10
	s_delay_alu instid0(VALU_DEP_2) | instskip(NEXT) | instid1(VALU_DEP_2)
	v_mul_hi_u32 v10, v2, v9
	v_mul_lo_u32 v11, v2, v8
	v_mul_hi_u32 v12, v2, v8
	v_mul_hi_u32 v13, v7, v9
	v_mul_lo_u32 v9, v7, v9
	v_mul_hi_u32 v14, v7, v8
	v_mul_lo_u32 v8, v7, v8
	v_add_co_u32 v10, vcc_lo, v10, v11
	v_add_co_ci_u32_e32 v11, vcc_lo, 0, v12, vcc_lo
	s_delay_alu instid0(VALU_DEP_2) | instskip(NEXT) | instid1(VALU_DEP_2)
	v_add_co_u32 v9, vcc_lo, v10, v9
	v_add_co_ci_u32_e32 v9, vcc_lo, v11, v13, vcc_lo
	v_add_co_ci_u32_e32 v10, vcc_lo, 0, v14, vcc_lo
	s_delay_alu instid0(VALU_DEP_2) | instskip(NEXT) | instid1(VALU_DEP_2)
	v_add_co_u32 v8, vcc_lo, v9, v8
	v_add_co_ci_u32_e32 v9, vcc_lo, 0, v10, vcc_lo
	s_delay_alu instid0(VALU_DEP_2) | instskip(NEXT) | instid1(VALU_DEP_2)
	v_add_co_u32 v2, vcc_lo, v2, v8
	v_add_co_ci_u32_e32 v7, vcc_lo, v7, v9, vcc_lo
	s_delay_alu instid0(VALU_DEP_2) | instskip(SKIP_1) | instid1(VALU_DEP_3)
	v_mul_hi_u32 v8, s2, v2
	v_mul_lo_u32 v10, s20, v2
	v_mul_lo_u32 v9, s2, v7
	s_delay_alu instid0(VALU_DEP_1) | instskip(SKIP_1) | instid1(VALU_DEP_2)
	v_add_nc_u32_e32 v8, v8, v9
	v_mul_lo_u32 v9, s2, v2
	v_add_nc_u32_e32 v8, v8, v10
	s_delay_alu instid0(VALU_DEP_2) | instskip(NEXT) | instid1(VALU_DEP_2)
	v_mul_hi_u32 v10, v2, v9
	v_mul_lo_u32 v11, v2, v8
	v_mul_hi_u32 v12, v2, v8
	v_mul_hi_u32 v13, v7, v9
	v_mul_lo_u32 v9, v7, v9
	v_mul_hi_u32 v14, v7, v8
	v_mul_lo_u32 v8, v7, v8
	v_add_co_u32 v10, vcc_lo, v10, v11
	v_add_co_ci_u32_e32 v11, vcc_lo, 0, v12, vcc_lo
	s_delay_alu instid0(VALU_DEP_2) | instskip(NEXT) | instid1(VALU_DEP_2)
	v_add_co_u32 v9, vcc_lo, v10, v9
	v_add_co_ci_u32_e32 v9, vcc_lo, v11, v13, vcc_lo
	v_add_co_ci_u32_e32 v10, vcc_lo, 0, v14, vcc_lo
	s_delay_alu instid0(VALU_DEP_2) | instskip(NEXT) | instid1(VALU_DEP_2)
	v_add_co_u32 v8, vcc_lo, v9, v8
	v_add_co_ci_u32_e32 v9, vcc_lo, 0, v10, vcc_lo
	s_delay_alu instid0(VALU_DEP_2) | instskip(NEXT) | instid1(VALU_DEP_2)
	v_add_co_u32 v2, vcc_lo, v2, v8
	v_add_co_ci_u32_e32 v13, vcc_lo, v7, v9, vcc_lo
	s_delay_alu instid0(VALU_DEP_2) | instskip(SKIP_1) | instid1(VALU_DEP_3)
	v_mul_hi_u32 v14, v5, v2
	v_mad_u64_u32 v[9:10], null, v6, v2, 0
	v_mad_u64_u32 v[7:8], null, v5, v13, 0
	;; [unrolled: 1-line block ×3, first 2 shown]
	s_delay_alu instid0(VALU_DEP_2) | instskip(NEXT) | instid1(VALU_DEP_3)
	v_add_co_u32 v2, vcc_lo, v14, v7
	v_add_co_ci_u32_e32 v7, vcc_lo, 0, v8, vcc_lo
	s_delay_alu instid0(VALU_DEP_2) | instskip(NEXT) | instid1(VALU_DEP_2)
	v_add_co_u32 v2, vcc_lo, v2, v9
	v_add_co_ci_u32_e32 v2, vcc_lo, v7, v10, vcc_lo
	v_add_co_ci_u32_e32 v7, vcc_lo, 0, v12, vcc_lo
	s_delay_alu instid0(VALU_DEP_2) | instskip(NEXT) | instid1(VALU_DEP_2)
	v_add_co_u32 v2, vcc_lo, v2, v11
	v_add_co_ci_u32_e32 v9, vcc_lo, 0, v7, vcc_lo
	s_delay_alu instid0(VALU_DEP_2) | instskip(SKIP_1) | instid1(VALU_DEP_3)
	v_mul_lo_u32 v10, s19, v2
	v_mad_u64_u32 v[7:8], null, s18, v2, 0
	v_mul_lo_u32 v11, s18, v9
	s_delay_alu instid0(VALU_DEP_2) | instskip(NEXT) | instid1(VALU_DEP_2)
	v_sub_co_u32 v7, vcc_lo, v5, v7
	v_add3_u32 v8, v8, v11, v10
	s_delay_alu instid0(VALU_DEP_1) | instskip(NEXT) | instid1(VALU_DEP_1)
	v_sub_nc_u32_e32 v10, v6, v8
	v_subrev_co_ci_u32_e64 v10, s2, s19, v10, vcc_lo
	v_add_co_u32 v11, s2, v2, 2
	s_delay_alu instid0(VALU_DEP_1) | instskip(SKIP_3) | instid1(VALU_DEP_3)
	v_add_co_ci_u32_e64 v12, s2, 0, v9, s2
	v_sub_co_u32 v13, s2, v7, s18
	v_sub_co_ci_u32_e32 v8, vcc_lo, v6, v8, vcc_lo
	v_subrev_co_ci_u32_e64 v10, s2, 0, v10, s2
	v_cmp_le_u32_e32 vcc_lo, s18, v13
	s_delay_alu instid0(VALU_DEP_3) | instskip(SKIP_1) | instid1(VALU_DEP_4)
	v_cmp_eq_u32_e64 s2, s19, v8
	v_cndmask_b32_e64 v13, 0, -1, vcc_lo
	v_cmp_le_u32_e32 vcc_lo, s19, v10
	v_cndmask_b32_e64 v14, 0, -1, vcc_lo
	v_cmp_le_u32_e32 vcc_lo, s18, v7
	;; [unrolled: 2-line block ×3, first 2 shown]
	v_cndmask_b32_e64 v15, 0, -1, vcc_lo
	v_cmp_eq_u32_e32 vcc_lo, s19, v10
	s_delay_alu instid0(VALU_DEP_2) | instskip(SKIP_3) | instid1(VALU_DEP_3)
	v_cndmask_b32_e64 v7, v15, v7, s2
	v_cndmask_b32_e32 v10, v14, v13, vcc_lo
	v_add_co_u32 v13, vcc_lo, v2, 1
	v_add_co_ci_u32_e32 v14, vcc_lo, 0, v9, vcc_lo
	v_cmp_ne_u32_e32 vcc_lo, 0, v10
	s_delay_alu instid0(VALU_DEP_2) | instskip(NEXT) | instid1(VALU_DEP_4)
	v_cndmask_b32_e32 v8, v14, v12, vcc_lo
	v_cndmask_b32_e32 v10, v13, v11, vcc_lo
	v_cmp_ne_u32_e32 vcc_lo, 0, v7
	s_delay_alu instid0(VALU_DEP_2)
	v_dual_cndmask_b32 v7, v2, v10 :: v_dual_cndmask_b32 v8, v9, v8
.LBB0_4:                                ;   in Loop: Header=BB0_2 Depth=1
	s_and_not1_saveexec_b32 s2, s3
	s_cbranch_execz .LBB0_6
; %bb.5:                                ;   in Loop: Header=BB0_2 Depth=1
	v_cvt_f32_u32_e32 v2, s18
	s_sub_i32 s3, 0, s18
	s_delay_alu instid0(VALU_DEP_1) | instskip(SKIP_2) | instid1(VALU_DEP_1)
	v_rcp_iflag_f32_e32 v2, v2
	s_waitcnt_depctr 0xfff
	v_mul_f32_e32 v2, 0x4f7ffffe, v2
	v_cvt_u32_f32_e32 v2, v2
	s_delay_alu instid0(VALU_DEP_1) | instskip(NEXT) | instid1(VALU_DEP_1)
	v_mul_lo_u32 v7, s3, v2
	v_mul_hi_u32 v7, v2, v7
	s_delay_alu instid0(VALU_DEP_1) | instskip(NEXT) | instid1(VALU_DEP_1)
	v_add_nc_u32_e32 v2, v2, v7
	v_mul_hi_u32 v2, v5, v2
	s_delay_alu instid0(VALU_DEP_1) | instskip(SKIP_1) | instid1(VALU_DEP_2)
	v_mul_lo_u32 v7, v2, s18
	v_add_nc_u32_e32 v8, 1, v2
	v_sub_nc_u32_e32 v7, v5, v7
	s_delay_alu instid0(VALU_DEP_1) | instskip(SKIP_1) | instid1(VALU_DEP_2)
	v_subrev_nc_u32_e32 v9, s18, v7
	v_cmp_le_u32_e32 vcc_lo, s18, v7
	v_dual_cndmask_b32 v7, v7, v9 :: v_dual_cndmask_b32 v2, v2, v8
	s_delay_alu instid0(VALU_DEP_1) | instskip(NEXT) | instid1(VALU_DEP_2)
	v_cmp_le_u32_e32 vcc_lo, s18, v7
	v_add_nc_u32_e32 v8, 1, v2
	s_delay_alu instid0(VALU_DEP_1)
	v_dual_cndmask_b32 v7, v2, v8 :: v_dual_mov_b32 v8, v1
.LBB0_6:                                ;   in Loop: Header=BB0_2 Depth=1
	s_or_b32 exec_lo, exec_lo, s2
	s_load_b64 s[2:3], s[12:13], 0x0
	s_delay_alu instid0(VALU_DEP_1) | instskip(NEXT) | instid1(VALU_DEP_2)
	v_mul_lo_u32 v2, v8, s18
	v_mul_lo_u32 v11, v7, s19
	v_mad_u64_u32 v[9:10], null, v7, s18, 0
	s_add_u32 s16, s16, 1
	s_addc_u32 s17, s17, 0
	s_add_u32 s12, s12, 8
	s_addc_u32 s13, s13, 0
	;; [unrolled: 2-line block ×3, first 2 shown]
	s_delay_alu instid0(VALU_DEP_1) | instskip(SKIP_1) | instid1(VALU_DEP_2)
	v_add3_u32 v2, v10, v11, v2
	v_sub_co_u32 v9, vcc_lo, v5, v9
	v_sub_co_ci_u32_e32 v2, vcc_lo, v6, v2, vcc_lo
	s_waitcnt lgkmcnt(0)
	s_delay_alu instid0(VALU_DEP_2) | instskip(NEXT) | instid1(VALU_DEP_2)
	v_mul_lo_u32 v10, s3, v9
	v_mul_lo_u32 v2, s2, v2
	v_mad_u64_u32 v[5:6], null, s2, v9, v[3:4]
	v_cmp_ge_u64_e64 s2, s[16:17], s[6:7]
	s_delay_alu instid0(VALU_DEP_1) | instskip(NEXT) | instid1(VALU_DEP_2)
	s_and_b32 vcc_lo, exec_lo, s2
	v_add3_u32 v4, v10, v6, v2
	s_delay_alu instid0(VALU_DEP_3)
	v_mov_b32_e32 v3, v5
	s_cbranch_vccnz .LBB0_9
; %bb.7:                                ;   in Loop: Header=BB0_2 Depth=1
	v_dual_mov_b32 v5, v7 :: v_dual_mov_b32 v6, v8
	s_branch .LBB0_2
.LBB0_8:
	v_dual_mov_b32 v8, v6 :: v_dual_mov_b32 v7, v5
.LBB0_9:
	s_lshl_b64 s[2:3], s[6:7], 3
	v_mul_hi_u32 v2, 0x4924925, v0
	s_add_u32 s2, s10, s2
	s_addc_u32 s3, s11, s3
	v_dual_mov_b32 v1, 0 :: v_dual_mov_b32 v14, 0
	s_load_b64 s[2:3], s[2:3], 0x0
	s_load_b64 s[0:1], s[0:1], 0x20
	v_mov_b32_e32 v10, 0
                                        ; implicit-def: $vgpr18
                                        ; implicit-def: $vgpr20
                                        ; implicit-def: $vgpr19
                                        ; implicit-def: $vgpr13
                                        ; implicit-def: $vgpr17
                                        ; implicit-def: $vgpr9
                                        ; implicit-def: $vgpr15
                                        ; implicit-def: $vgpr16
	s_delay_alu instid0(VALU_DEP_3) | instskip(NEXT) | instid1(VALU_DEP_1)
	v_mul_u32_u24_e32 v2, 56, v2
	v_sub_nc_u32_e32 v0, v0, v2
	s_waitcnt lgkmcnt(0)
	v_mul_lo_u32 v5, s2, v8
	v_mul_lo_u32 v6, s3, v7
	v_mad_u64_u32 v[11:12], null, s2, v7, v[3:4]
	v_cmp_gt_u64_e32 vcc_lo, s[0:1], v[7:8]
	v_mov_b32_e32 v4, 0
                                        ; implicit-def: $vgpr7
                                        ; implicit-def: $vgpr8
	s_delay_alu instid0(VALU_DEP_3) | instskip(SKIP_1) | instid1(VALU_DEP_2)
	v_add3_u32 v12, v6, v12, v5
	v_dual_mov_b32 v5, 0 :: v_dual_mov_b32 v6, 0
	v_lshlrev_b64 v[2:3], 2, v[11:12]
                                        ; implicit-def: $vgpr11
                                        ; implicit-def: $vgpr12
	s_and_saveexec_b32 s1, vcc_lo
	s_cbranch_execz .LBB0_11
; %bb.10:
	v_mov_b32_e32 v1, 0
	s_delay_alu instid0(VALU_DEP_1) | instskip(NEXT) | instid1(VALU_DEP_3)
	v_lshlrev_b64 v[4:5], 2, v[0:1]
	v_add_co_u32 v1, s0, s8, v2
	s_delay_alu instid0(VALU_DEP_1) | instskip(NEXT) | instid1(VALU_DEP_2)
	v_add_co_ci_u32_e64 v6, s0, s9, v3, s0
	v_add_co_u32 v15, s0, v1, v4
	s_delay_alu instid0(VALU_DEP_1)
	v_add_co_ci_u32_e64 v16, s0, v6, v5, s0
	s_clause 0xb
	global_load_b32 v11, v[15:16], off offset:1344
	global_load_b32 v12, v[15:16], off offset:1568
	;; [unrolled: 1-line block ×6, first 2 shown]
	global_load_b32 v1, v[15:16], off
	global_load_b32 v14, v[15:16], off offset:224
	global_load_b32 v10, v[15:16], off offset:448
	;; [unrolled: 1-line block ×5, first 2 shown]
	s_waitcnt vmcnt(11)
	v_lshrrev_b32_e32 v18, 16, v11
	s_waitcnt vmcnt(10)
	v_lshrrev_b32_e32 v20, 16, v12
	;; [unrolled: 2-line block ×6, first 2 shown]
.LBB0_11:
	s_or_b32 exec_lo, exec_lo, s1
	s_waitcnt vmcnt(5)
	v_lshrrev_b32_e32 v21, 16, v1
	v_sub_f16_e32 v11, v1, v11
	s_waitcnt vmcnt(3)
	v_sub_f16_e32 v13, v10, v13
	v_sub_f16_e32 v12, v14, v12
	s_waitcnt vmcnt(1)
	v_sub_f16_e32 v28, v4, v7
	s_waitcnt vmcnt(0)
	v_sub_f16_e32 v8, v5, v8
	v_sub_f16_e32 v9, v6, v9
	v_lshrrev_b32_e32 v23, 16, v10
	v_sub_f16_e32 v18, v21, v18
	v_fma_f16 v1, v1, 2.0, -v11
	v_fma_f16 v10, v10, 2.0, -v13
	v_lshrrev_b32_e32 v25, 16, v4
	v_lshrrev_b32_e32 v26, 16, v5
	;; [unrolled: 1-line block ×3, first 2 shown]
	v_fma_f16 v14, v14, 2.0, -v12
	v_fma_f16 v29, v4, 2.0, -v28
	v_add_nc_u32_e32 v4, 56, v0
	v_fma_f16 v30, v5, 2.0, -v8
	v_add_nc_u32_e32 v5, 0x70, v0
	v_lshrrev_b32_e32 v24, 16, v6
	v_fma_f16 v27, v6, 2.0, -v9
	v_add_nc_u32_e32 v6, 0xa8, v0
	v_add_nc_u32_e32 v33, 0xe0, v0
	v_fma_f16 v21, v21, 2.0, -v18
	v_sub_f16_e32 v15, v25, v15
	v_sub_f16_e32 v16, v26, v16
	v_lshl_add_u32 v31, v0, 2, 0
	v_pack_b32_f16 v11, v1, v11
	v_pack_b32_f16 v10, v10, v13
	v_add_nc_u32_e32 v13, 0x118, v0
	v_sub_f16_e32 v20, v22, v20
	v_lshl_add_u32 v32, v4, 2, 0
	v_pack_b32_f16 v12, v14, v12
	v_sub_f16_e32 v19, v23, v19
	v_lshl_add_u32 v14, v5, 2, 0
	v_sub_f16_e32 v17, v24, v17
	v_lshl_add_u32 v34, v6, 2, 0
	v_pack_b32_f16 v9, v27, v9
	v_lshl_add_u32 v27, v33, 2, 0
	v_pack_b32_f16 v28, v29, v28
	v_pack_b32_f16 v8, v30, v8
	v_fma_f16 v25, v25, 2.0, -v15
	v_fma_f16 v26, v26, 2.0, -v16
	v_lshlrev_b32_e32 v7, 1, v0
	v_lshl_add_u32 v29, v13, 2, 0
	ds_store_b32 v31, v11
	ds_store_b32 v32, v12
	;; [unrolled: 1-line block ×6, first 2 shown]
	v_pack_b32_f16 v8, v21, v18
	v_and_b32_e32 v18, 1, v0
	v_fma_f16 v22, v22, 2.0, -v20
	v_fma_f16 v23, v23, 2.0, -v19
	;; [unrolled: 1-line block ×3, first 2 shown]
	v_sub_nc_u32_e32 v1, v31, v7
	v_pack_b32_f16 v12, v25, v15
	v_pack_b32_f16 v15, v26, v16
	v_lshlrev_b32_e32 v16, 2, v18
	v_pack_b32_f16 v9, v22, v20
	v_pack_b32_f16 v10, v23, v19
	;; [unrolled: 1-line block ×3, first 2 shown]
	s_waitcnt lgkmcnt(0)
	s_barrier
	buffer_gl0_inv
	ds_load_u16 v28, v1 offset:784
	ds_load_u16 v30, v1
	ds_load_u16 v35, v1 offset:112
	ds_load_u16 v36, v1 offset:224
	;; [unrolled: 1-line block ×10, first 2 shown]
	s_waitcnt lgkmcnt(0)
	s_barrier
	buffer_gl0_inv
	ds_store_b32 v31, v8
	ds_store_b32 v32, v9
	ds_store_b32 v14, v10
	ds_store_b32 v34, v11
	ds_store_b32 v27, v12
	ds_store_b32 v29, v15
	s_waitcnt lgkmcnt(0)
	s_barrier
	buffer_gl0_inv
	global_load_b32 v14, v16, s[4:5]
	ds_load_u16 v23, v1 offset:672
	ds_load_u16 v24, v1 offset:784
	ds_load_u16 v25, v1 offset:896
	ds_load_u16 v26, v1 offset:1008
	v_lshlrev_b32_e32 v11, 1, v33
	ds_load_u16 v27, v1 offset:1120
	ds_load_u16 v29, v1 offset:1232
	ds_load_u16 v31, v1
	ds_load_u16 v32, v1 offset:112
	ds_load_u16 v33, v1 offset:224
	;; [unrolled: 1-line block ×5, first 2 shown]
	v_lshlrev_b32_e32 v8, 1, v4
	v_lshlrev_b32_e32 v9, 1, v5
	v_and_b32_e32 v15, 3, v0
	v_and_or_b32 v16, 0x7c, v7, v18
	v_lshlrev_b32_e32 v10, 1, v6
	v_lshlrev_b32_e32 v12, 1, v13
	v_and_or_b32 v19, 0xfc, v8, v18
	v_and_or_b32 v20, 0x1fc, v9, v18
	v_lshlrev_b32_e32 v17, 2, v15
	v_lshl_add_u32 v16, v16, 1, 0
	v_and_or_b32 v21, 0x1fc, v10, v18
	v_and_or_b32 v22, 0x3fc, v11, v18
	;; [unrolled: 1-line block ×3, first 2 shown]
	v_lshl_add_u32 v19, v19, 1, 0
	v_lshl_add_u32 v20, v20, 1, 0
	;; [unrolled: 1-line block ×5, first 2 shown]
	s_waitcnt vmcnt(0) lgkmcnt(0)
	s_barrier
	buffer_gl0_inv
	v_and_b32_e32 v13, 15, v13
	v_cmp_gt_u32_e64 s0, 40, v0
	v_lshrrev_b32_e32 v46, 16, v14
	s_delay_alu instid0(VALU_DEP_1)
	v_mul_f16_e32 v48, v23, v46
	v_mul_f16_e32 v49, v39, v46
	;; [unrolled: 1-line block ×12, first 2 shown]
	v_fmac_f16_e32 v48, v39, v14
	v_fma_f16 v23, v23, v14, -v49
	v_fmac_f16_e32 v50, v28, v14
	v_fma_f16 v24, v24, v14, -v51
	;; [unrolled: 2-line block ×3, first 2 shown]
	v_fmac_f16_e32 v54, v42, v14
	v_fmac_f16_e32 v56, v43, v14
	;; [unrolled: 1-line block ×3, first 2 shown]
	v_fma_f16 v26, v26, v14, -v55
	v_fma_f16 v27, v27, v14, -v57
	;; [unrolled: 1-line block ×3, first 2 shown]
	v_sub_f16_e32 v28, v30, v48
	v_sub_f16_e32 v23, v31, v23
	;; [unrolled: 1-line block ×12, first 2 shown]
	v_fma_f16 v30, v30, 2.0, -v28
	v_fma_f16 v31, v31, 2.0, -v23
	v_fma_f16 v35, v35, 2.0, -v29
	v_fma_f16 v32, v32, 2.0, -v24
	v_fma_f16 v36, v36, 2.0, -v39
	v_fma_f16 v33, v33, 2.0, -v25
	v_fma_f16 v37, v37, 2.0, -v41
	v_fma_f16 v38, v38, 2.0, -v42
	v_fma_f16 v40, v40, 2.0, -v43
	v_fma_f16 v34, v34, 2.0, -v26
	v_fma_f16 v44, v45, 2.0, -v27
	v_fma_f16 v45, v47, 2.0, -v14
	ds_store_b16 v16, v30
	ds_store_b16 v16, v28 offset:4
	ds_store_b16 v19, v35
	ds_store_b16 v19, v29 offset:4
	;; [unrolled: 2-line block ×6, first 2 shown]
	s_waitcnt lgkmcnt(0)
	s_barrier
	buffer_gl0_inv
	ds_load_u16 v28, v1 offset:784
	ds_load_u16 v29, v1
	ds_load_u16 v30, v1 offset:112
	ds_load_u16 v35, v1 offset:224
	;; [unrolled: 1-line block ×10, first 2 shown]
	s_waitcnt lgkmcnt(0)
	s_barrier
	buffer_gl0_inv
	ds_store_b16 v16, v31
	ds_store_b16 v16, v23 offset:4
	ds_store_b16 v19, v32
	ds_store_b16 v19, v24 offset:4
	;; [unrolled: 2-line block ×6, first 2 shown]
	s_waitcnt lgkmcnt(0)
	s_barrier
	buffer_gl0_inv
	global_load_b32 v14, v17, s[4:5] offset:8
	ds_load_u16 v23, v1 offset:672
	ds_load_u16 v24, v1 offset:784
	;; [unrolled: 1-line block ×6, first 2 shown]
	ds_load_u16 v32, v1
	ds_load_u16 v33, v1 offset:112
	ds_load_u16 v34, v1 offset:224
	;; [unrolled: 1-line block ×5, first 2 shown]
	v_and_b32_e32 v16, 7, v0
	v_and_or_b32 v17, 0x78, v7, v15
	v_and_or_b32 v19, 0xf8, v8, v15
	;; [unrolled: 1-line block ×4, first 2 shown]
	v_lshlrev_b32_e32 v18, 2, v16
	v_lshl_add_u32 v17, v17, 1, 0
	v_and_or_b32 v22, 0x3f8, v11, v15
	v_and_or_b32 v15, 0x2f8, v12, v15
	v_lshl_add_u32 v19, v19, 1, 0
	v_lshl_add_u32 v20, v20, 1, 0
	;; [unrolled: 1-line block ×5, first 2 shown]
	s_waitcnt vmcnt(0) lgkmcnt(0)
	s_barrier
	buffer_gl0_inv
	v_lshrrev_b32_e32 v46, 16, v14
	s_delay_alu instid0(VALU_DEP_1)
	v_mul_f16_e32 v48, v23, v46
	v_mul_f16_e32 v49, v38, v46
	;; [unrolled: 1-line block ×12, first 2 shown]
	v_fmac_f16_e32 v48, v38, v14
	v_fma_f16 v23, v23, v14, -v49
	v_fmac_f16_e32 v50, v28, v14
	v_fma_f16 v24, v24, v14, -v51
	;; [unrolled: 2-line block ×3, first 2 shown]
	v_fmac_f16_e32 v54, v41, v14
	v_fmac_f16_e32 v56, v42, v14
	;; [unrolled: 1-line block ×3, first 2 shown]
	v_fma_f16 v26, v26, v14, -v55
	v_fma_f16 v27, v27, v14, -v57
	;; [unrolled: 1-line block ×3, first 2 shown]
	v_sub_f16_e32 v28, v29, v48
	v_sub_f16_e32 v23, v32, v23
	;; [unrolled: 1-line block ×12, first 2 shown]
	v_fma_f16 v29, v29, 2.0, -v28
	v_fma_f16 v32, v32, 2.0, -v23
	v_fma_f16 v30, v30, 2.0, -v31
	v_fma_f16 v33, v33, 2.0, -v24
	v_fma_f16 v35, v35, 2.0, -v38
	v_fma_f16 v34, v34, 2.0, -v25
	v_fma_f16 v36, v36, 2.0, -v40
	v_fma_f16 v37, v37, 2.0, -v41
	v_fma_f16 v39, v39, 2.0, -v42
	v_fma_f16 v43, v44, 2.0, -v26
	v_fma_f16 v44, v45, 2.0, -v27
	v_fma_f16 v45, v47, 2.0, -v14
	ds_store_b16 v17, v29
	ds_store_b16 v17, v28 offset:8
	ds_store_b16 v19, v30
	ds_store_b16 v19, v31 offset:8
	;; [unrolled: 2-line block ×6, first 2 shown]
	s_waitcnt lgkmcnt(0)
	s_barrier
	buffer_gl0_inv
	ds_load_u16 v28, v1 offset:784
	ds_load_u16 v29, v1
	ds_load_u16 v30, v1 offset:112
	ds_load_u16 v31, v1 offset:224
	;; [unrolled: 1-line block ×10, first 2 shown]
	s_waitcnt lgkmcnt(0)
	s_barrier
	buffer_gl0_inv
	ds_store_b16 v17, v32
	ds_store_b16 v17, v23 offset:8
	ds_store_b16 v19, v33
	ds_store_b16 v19, v24 offset:8
	;; [unrolled: 2-line block ×6, first 2 shown]
	s_waitcnt lgkmcnt(0)
	s_barrier
	buffer_gl0_inv
	global_load_b32 v14, v18, s[4:5] offset:24
	ds_load_u16 v26, v1 offset:672
	ds_load_u16 v27, v1 offset:784
	;; [unrolled: 1-line block ×6, first 2 shown]
	ds_load_u16 v44, v1
	ds_load_u16 v45, v1 offset:112
	ds_load_u16 v46, v1 offset:224
	;; [unrolled: 1-line block ×5, first 2 shown]
	v_and_or_b32 v17, 0x70, v7, v16
	v_and_b32_e32 v15, 15, v0
	v_and_or_b32 v20, 0xf0, v8, v16
	v_and_b32_e32 v19, 15, v6
	v_and_or_b32 v21, 0x1f0, v9, v16
	v_lshl_add_u32 v17, v17, 1, 0
	v_and_or_b32 v22, 0x1f0, v10, v16
	v_and_or_b32 v23, 0x3f0, v11, v16
	;; [unrolled: 1-line block ×3, first 2 shown]
	v_lshlrev_b32_e32 v18, 2, v15
	v_lshlrev_b32_e32 v24, 2, v13
	v_lshl_add_u32 v20, v20, 1, 0
	v_lshlrev_b32_e32 v25, 2, v19
	v_lshl_add_u32 v21, v21, 1, 0
	v_lshl_add_u32 v22, v22, 1, 0
	;; [unrolled: 1-line block ×4, first 2 shown]
	s_waitcnt vmcnt(0) lgkmcnt(0)
	s_barrier
	buffer_gl0_inv
	v_and_or_b32 v7, 0x60, v7, v15
	v_lshrrev_b32_e32 v49, 16, v14
	s_delay_alu instid0(VALU_DEP_1)
	v_mul_f16_e32 v51, v26, v49
	v_mul_f16_e32 v52, v37, v49
	;; [unrolled: 1-line block ×12, first 2 shown]
	v_fmac_f16_e32 v51, v37, v14
	v_fma_f16 v26, v26, v14, -v52
	v_fmac_f16_e32 v53, v28, v14
	v_fma_f16 v27, v27, v14, -v54
	;; [unrolled: 2-line block ×3, first 2 shown]
	v_fmac_f16_e32 v57, v40, v14
	v_fmac_f16_e32 v59, v41, v14
	;; [unrolled: 1-line block ×3, first 2 shown]
	v_fma_f16 v32, v33, v14, -v58
	v_fma_f16 v33, v34, v14, -v60
	;; [unrolled: 1-line block ×3, first 2 shown]
	v_sub_f16_e32 v34, v29, v51
	v_sub_f16_e32 v26, v44, v26
	;; [unrolled: 1-line block ×12, first 2 shown]
	v_fma_f16 v29, v29, 2.0, -v34
	v_fma_f16 v43, v44, 2.0, -v26
	v_fma_f16 v30, v30, 2.0, -v37
	v_fma_f16 v44, v45, 2.0, -v27
	v_fma_f16 v31, v31, 2.0, -v39
	v_fma_f16 v45, v46, 2.0, -v28
	v_fma_f16 v35, v35, 2.0, -v40
	v_fma_f16 v36, v36, 2.0, -v41
	v_fma_f16 v38, v38, 2.0, -v42
	v_fma_f16 v46, v47, 2.0, -v32
	v_fma_f16 v47, v48, 2.0, -v33
	v_fma_f16 v48, v50, 2.0, -v14
	ds_store_b16 v17, v29
	ds_store_b16 v17, v34 offset:16
	ds_store_b16 v20, v30
	ds_store_b16 v20, v37 offset:16
	;; [unrolled: 2-line block ×6, first 2 shown]
	s_waitcnt lgkmcnt(0)
	s_barrier
	buffer_gl0_inv
	ds_load_u16 v29, v1 offset:784
	ds_load_u16 v30, v1
	ds_load_u16 v31, v1 offset:112
	ds_load_u16 v34, v1 offset:224
	;; [unrolled: 1-line block ×10, first 2 shown]
	s_waitcnt lgkmcnt(0)
	s_barrier
	buffer_gl0_inv
	ds_store_b16 v17, v43
	ds_store_b16 v17, v26 offset:16
	ds_store_b16 v20, v44
	ds_store_b16 v20, v27 offset:16
	;; [unrolled: 2-line block ×6, first 2 shown]
	v_and_b32_e32 v20, 15, v4
	s_waitcnt lgkmcnt(0)
	s_barrier
	buffer_gl0_inv
	s_clause 0x3
	global_load_b32 v14, v18, s[4:5] offset:56
	global_load_b32 v16, v24, s[4:5] offset:56
	global_load_u16 v17, v25, s[4:5] offset:58
	global_load_u16 v18, v24, s[4:5] offset:58
	v_lshlrev_b32_e32 v22, 2, v20
	global_load_u16 v21, v25, s[4:5] offset:56
	v_lshl_add_u32 v28, v7, 1, 0
	v_and_or_b32 v7, 0xe0, v8, v20
	v_and_or_b32 v8, 0x1e0, v9, v15
	global_load_u16 v22, v22, s[4:5] offset:56
	v_and_or_b32 v9, 0x1e0, v10, v19
	v_and_or_b32 v10, 0x3e0, v11, v15
	v_lshl_add_u32 v15, v7, 1, 0
	ds_load_u16 v7, v1 offset:896
	ds_load_u16 v19, v1 offset:1008
	;; [unrolled: 1-line block ×4, first 2 shown]
	v_lshl_add_u32 v33, v8, 1, 0
	ds_load_u16 v8, v1 offset:672
	ds_load_u16 v43, v1 offset:784
	ds_load_u16 v44, v1
	ds_load_u16 v45, v1 offset:112
	ds_load_u16 v46, v1 offset:224
	;; [unrolled: 1-line block ×5, first 2 shown]
	v_and_b32_e32 v24, 31, v0
	v_and_b32_e32 v25, 31, v4
	;; [unrolled: 1-line block ×3, first 2 shown]
	v_and_or_b32 v11, 0x2e0, v12, v13
	v_and_b32_e32 v27, 31, v6
	v_lshlrev_b32_e32 v23, 3, v24
	v_lshlrev_b32_e32 v12, 3, v25
	v_lshl_add_u32 v9, v9, 1, 0
	v_lshl_add_u32 v10, v10, 1, 0
	v_lshlrev_b32_e32 v13, 3, v26
	v_lshl_add_u32 v11, v11, 1, 0
	s_waitcnt vmcnt(0) lgkmcnt(0)
	s_barrier
	buffer_gl0_inv
	v_lshrrev_b32_e32 v5, 5, v5
	v_lshrrev_b32_e32 v6, 5, v6
	s_delay_alu instid0(VALU_DEP_2) | instskip(NEXT) | instid1(VALU_DEP_2)
	v_mul_u32_u24_e32 v5, 0x60, v5
	v_mul_u32_u24_e32 v6, 0x60, v6
	s_delay_alu instid0(VALU_DEP_2) | instskip(NEXT) | instid1(VALU_DEP_2)
	v_or_b32_e32 v5, v5, v26
	v_or_b32_e32 v6, v6, v27
	v_lshrrev_b32_e32 v50, 16, v14
	v_lshrrev_b32_e32 v51, 16, v16
	v_mul_f16_e32 v52, v19, v17
	v_mul_f16_e32 v17, v40, v17
	;; [unrolled: 1-line block ×10, first 2 shown]
	v_fmac_f16_e32 v52, v40, v21
	v_fma_f16 v17, v19, v21, -v17
	v_mul_f16_e32 v19, v20, v50
	v_mul_f16_e32 v21, v41, v50
	v_fmac_f16_e32 v54, v37, v14
	v_fma_f16 v8, v8, v14, -v55
	v_fmac_f16_e32 v53, v42, v16
	v_fma_f16 v16, v32, v16, -v18
	;; [unrolled: 2-line block ×5, first 2 shown]
	v_sub_f16_e32 v22, v30, v54
	v_sub_f16_e32 v29, v44, v8
	;; [unrolled: 1-line block ×12, first 2 shown]
	v_fma_f16 v30, v30, 2.0, -v22
	v_fma_f16 v40, v44, 2.0, -v29
	;; [unrolled: 1-line block ×12, first 2 shown]
	ds_store_b16 v28, v30
	ds_store_b16 v28, v22 offset:32
	ds_store_b16 v15, v31
	ds_store_b16 v15, v8 offset:32
	;; [unrolled: 2-line block ×6, first 2 shown]
	s_waitcnt lgkmcnt(0)
	s_barrier
	buffer_gl0_inv
	ds_load_u16 v44, v1
	ds_load_u16 v45, v1 offset:112
	ds_load_u16 v7, v1 offset:224
	;; [unrolled: 1-line block ×11, first 2 shown]
	s_waitcnt lgkmcnt(0)
	s_barrier
	buffer_gl0_inv
	ds_store_b16 v28, v40
	ds_store_b16 v28, v29 offset:32
	ds_store_b16 v15, v41
	ds_store_b16 v15, v18 offset:32
	;; [unrolled: 2-line block ×6, first 2 shown]
	s_waitcnt lgkmcnt(0)
	s_barrier
	buffer_gl0_inv
	global_load_b64 v[9:10], v23, s[4:5] offset:120
	v_lshlrev_b32_e32 v14, 3, v27
	s_clause 0x2
	global_load_b64 v[11:12], v12, s[4:5] offset:120
	global_load_b64 v[20:21], v13, s[4:5] offset:120
	;; [unrolled: 1-line block ×3, first 2 shown]
	v_lshrrev_b32_e32 v13, 5, v0
	v_lshrrev_b32_e32 v14, 5, v4
	v_lshl_add_u32 v19, v5, 1, 0
	v_lshl_add_u32 v18, v6, 1, 0
	s_delay_alu instid0(VALU_DEP_4) | instskip(NEXT) | instid1(VALU_DEP_4)
	v_mul_u32_u24_e32 v13, 0x60, v13
	v_mul_u32_u24_e32 v14, 0x60, v14
	s_delay_alu instid0(VALU_DEP_2) | instskip(NEXT) | instid1(VALU_DEP_2)
	v_or_b32_e32 v13, v13, v24
	v_or_b32_e32 v14, v14, v25
	s_delay_alu instid0(VALU_DEP_2)
	v_lshl_add_u32 v27, v13, 1, 0
	ds_load_u16 v13, v1 offset:448
	ds_load_u16 v17, v1 offset:896
	ds_load_u16 v29, v1
	ds_load_u16 v28, v1 offset:112
	ds_load_u16 v6, v1 offset:224
	;; [unrolled: 1-line block ×9, first 2 shown]
	v_lshl_add_u32 v26, v14, 1, 0
	s_waitcnt vmcnt(0) lgkmcnt(0)
	s_barrier
	buffer_gl0_inv
	v_lshrrev_b32_e32 v14, 16, v9
	v_lshrrev_b32_e32 v15, 16, v10
	;; [unrolled: 1-line block ×8, first 2 shown]
	v_mul_f16_e32 v37, v13, v14
	v_mul_f16_e32 v38, v17, v15
	;; [unrolled: 1-line block ×12, first 2 shown]
	v_fmac_f16_e32 v37, v46, v9
	v_fmac_f16_e32 v38, v47, v10
	;; [unrolled: 1-line block ×4, first 2 shown]
	v_mul_f16_e32 v57, v32, v39
	v_mul_f16_e32 v58, v49, v40
	;; [unrolled: 1-line block ×4, first 2 shown]
	v_fmac_f16_e32 v14, v32, v20
	v_fmac_f16_e32 v16, v49, v21
	;; [unrolled: 1-line block ×4, first 2 shown]
	v_fma_f16 v42, v13, v9, -v53
	v_fma_f16 v39, v17, v10, -v54
	v_add_f16_e32 v10, v37, v38
	v_fma_f16 v41, v24, v11, -v55
	v_fma_f16 v40, v33, v12, -v56
	v_add_f16_e32 v13, v35, v36
	v_fma_f16 v33, v25, v20, -v57
	v_fma_f16 v31, v51, v21, -v58
	;; [unrolled: 1-line block ×4, first 2 shown]
	v_add_f16_e32 v9, v44, v37
	v_add_f16_e32 v21, v14, v16
	;; [unrolled: 1-line block ×3, first 2 shown]
	v_sub_f16_e32 v11, v42, v39
	v_add_f16_e32 v20, v7, v14
	v_fmac_f16_e32 v44, -0.5, v10
	v_add_f16_e32 v12, v45, v35
	v_sub_f16_e32 v17, v41, v40
	v_fmac_f16_e32 v45, -0.5, v13
	v_sub_f16_e32 v22, v33, v31
	v_add_f16_e32 v23, v8, v15
	v_sub_f16_e32 v25, v34, v32
	v_add_f16_e32 v43, v9, v38
	v_fmac_f16_e32 v7, -0.5, v21
	v_fmac_f16_e32 v8, -0.5, v24
	v_add_f16_e32 v13, v20, v16
	v_fmamk_f16 v20, v11, 0xbaee, v44
	v_fmac_f16_e32 v44, 0x3aee, v11
	v_add_f16_e32 v12, v12, v36
	v_fmamk_f16 v21, v17, 0xbaee, v45
	v_add_f16_e32 v10, v23, v30
	v_fmac_f16_e32 v45, 0x3aee, v17
	v_fmamk_f16 v9, v22, 0xbaee, v7
	v_fmac_f16_e32 v7, 0x3aee, v22
	v_fmamk_f16 v11, v25, 0xbaee, v8
	v_fmac_f16_e32 v8, 0x3aee, v25
	ds_store_b16 v27, v43
	ds_store_b16 v27, v20 offset:64
	ds_store_b16 v27, v44 offset:128
	ds_store_b16 v26, v12
	ds_store_b16 v26, v21 offset:64
	ds_store_b16 v26, v45 offset:128
	;; [unrolled: 3-line block ×4, first 2 shown]
	s_waitcnt lgkmcnt(0)
	s_barrier
	buffer_gl0_inv
	ds_load_u16 v17, v1
	ds_load_u16 v24, v1 offset:192
	ds_load_u16 v20, v1 offset:384
	;; [unrolled: 1-line block ×6, first 2 shown]
                                        ; implicit-def: $vgpr13
                                        ; implicit-def: $vgpr12
	s_and_saveexec_b32 s1, s0
	s_cbranch_execz .LBB0_13
; %bb.12:
	ds_load_u16 v9, v1 offset:112
	ds_load_u16 v7, v1 offset:304
	ds_load_u16 v10, v1 offset:496
	ds_load_u16 v11, v1 offset:688
	ds_load_u16 v8, v1 offset:880
	ds_load_u16 v12, v1 offset:1072
	ds_load_u16 v13, v1 offset:1264
.LBB0_13:
	s_or_b32 exec_lo, exec_lo, s1
	v_add_f16_e32 v43, v42, v39
	v_sub_f16_e32 v37, v37, v38
	v_add_f16_e32 v38, v41, v40
	v_add_f16_e32 v42, v29, v42
	;; [unrolled: 1-line block ×3, first 2 shown]
	v_fmac_f16_e32 v29, -0.5, v43
	v_sub_f16_e32 v35, v35, v36
	v_fmac_f16_e32 v28, -0.5, v38
	v_add_f16_e32 v36, v42, v39
	v_add_f16_e32 v39, v33, v31
	v_fmamk_f16 v38, v37, 0x3aee, v29
	v_fmac_f16_e32 v29, 0xbaee, v37
	v_add_f16_e32 v37, v41, v40
	v_fmamk_f16 v40, v35, 0x3aee, v28
	v_fmac_f16_e32 v28, 0xbaee, v35
	v_add_f16_e32 v35, v34, v32
	v_add_f16_e32 v33, v6, v33
	v_fmac_f16_e32 v6, -0.5, v39
	v_sub_f16_e32 v16, v14, v16
	v_add_f16_e32 v34, v5, v34
	v_fmac_f16_e32 v5, -0.5, v35
	v_sub_f16_e32 v30, v15, v30
	v_add_f16_e32 v31, v33, v31
	v_fmamk_f16 v14, v16, 0x3aee, v6
	v_fmac_f16_e32 v6, 0xbaee, v16
	v_add_f16_e32 v15, v34, v32
	v_fmamk_f16 v16, v30, 0x3aee, v5
	v_fmac_f16_e32 v5, 0xbaee, v30
	s_waitcnt lgkmcnt(0)
	s_barrier
	buffer_gl0_inv
	ds_store_b16 v27, v36
	ds_store_b16 v27, v38 offset:64
	ds_store_b16 v27, v29 offset:128
	ds_store_b16 v26, v37
	ds_store_b16 v26, v40 offset:64
	ds_store_b16 v26, v28 offset:128
	ds_store_b16 v19, v31
	ds_store_b16 v19, v14 offset:64
	ds_store_b16 v19, v6 offset:128
	ds_store_b16 v18, v15
	ds_store_b16 v18, v16 offset:64
	ds_store_b16 v18, v5 offset:128
	s_waitcnt lgkmcnt(0)
	s_barrier
	buffer_gl0_inv
	ds_load_u16 v26, v1
	ds_load_u16 v28, v1 offset:192
	ds_load_u16 v27, v1 offset:384
	ds_load_u16 v29, v1 offset:576
	ds_load_u16 v30, v1 offset:768
	ds_load_u16 v31, v1 offset:960
	ds_load_u16 v32, v1 offset:1152
                                        ; implicit-def: $vgpr19
                                        ; implicit-def: $vgpr18
	s_and_saveexec_b32 s1, s0
	s_cbranch_execz .LBB0_15
; %bb.14:
	ds_load_u16 v14, v1 offset:112
	ds_load_u16 v6, v1 offset:304
	;; [unrolled: 1-line block ×7, first 2 shown]
.LBB0_15:
	s_or_b32 exec_lo, exec_lo, s1
	s_and_saveexec_b32 s1, vcc_lo
	s_cbranch_execz .LBB0_18
; %bb.16:
	v_mul_u32_u24_e32 v1, 6, v0
	v_add_co_u32 v2, vcc_lo, s8, v2
	v_add_co_ci_u32_e32 v3, vcc_lo, s9, v3, vcc_lo
	s_delay_alu instid0(VALU_DEP_3) | instskip(SKIP_4) | instid1(VALU_DEP_1)
	v_lshlrev_b32_e32 v1, 2, v1
	s_clause 0x1
	global_load_b128 v[33:36], v1, s[4:5] offset:376
	global_load_b64 v[37:38], v1, s[4:5] offset:392
	v_mov_b32_e32 v1, 0
	v_lshlrev_b64 v[39:40], 2, v[0:1]
	s_delay_alu instid0(VALU_DEP_1) | instskip(NEXT) | instid1(VALU_DEP_2)
	v_add_co_u32 v2, vcc_lo, v2, v39
	v_add_co_ci_u32_e32 v3, vcc_lo, v3, v40, vcc_lo
	s_waitcnt vmcnt(1)
	v_lshrrev_b32_e32 v39, 16, v33
	v_lshrrev_b32_e32 v40, 16, v34
	v_mul_f16_e32 v41, v24, v33
	s_waitcnt vmcnt(0)
	v_lshrrev_b32_e32 v42, 16, v38
	v_lshrrev_b32_e32 v44, 16, v35
	v_lshrrev_b32_e32 v45, 16, v37
	v_lshrrev_b32_e32 v43, 16, v36
	s_waitcnt lgkmcnt(5)
	v_fmac_f16_e32 v41, v28, v39
	s_waitcnt lgkmcnt(0)
	v_mul_f16_e32 v46, v32, v42
	v_mul_f16_e32 v48, v29, v44
	;; [unrolled: 1-line block ×11, first 2 shown]
	v_fmac_f16_e32 v46, v25, v38
	v_fmac_f16_e32 v48, v21, v35
	;; [unrolled: 1-line block ×4, first 2 shown]
	v_fma_f16 v20, v32, v38, -v42
	v_fma_f16 v21, v28, v33, -v24
	;; [unrolled: 1-line block ×4, first 2 shown]
	v_fmac_f16_e32 v47, v23, v36
	v_fma_f16 v22, v29, v35, -v39
	v_fma_f16 v23, v30, v36, -v43
	v_add_f16_e32 v30, v21, v20
	v_add_f16_e32 v32, v25, v24
	;; [unrolled: 1-line block ×4, first 2 shown]
	v_sub_f16_e32 v27, v41, v46
	v_sub_f16_e32 v28, v47, v48
	;; [unrolled: 1-line block ×3, first 2 shown]
	v_add_f16_e32 v31, v23, v22
	v_add_f16_e32 v34, v47, v48
	v_sub_f16_e32 v20, v21, v20
	v_sub_f16_e32 v21, v23, v22
	;; [unrolled: 1-line block ×3, first 2 shown]
	v_add_f16_e32 v37, v30, v32
	v_add_f16_e32 v40, v33, v35
	v_sub_f16_e32 v23, v27, v28
	v_sub_f16_e32 v24, v28, v29
	v_add_f16_e32 v25, v28, v29
	v_sub_f16_e32 v28, v30, v31
	v_sub_f16_e32 v36, v31, v32
	;; [unrolled: 1-line block ×6, first 2 shown]
	v_add_f16_e32 v21, v21, v22
	v_sub_f16_e32 v29, v29, v27
	v_sub_f16_e32 v22, v22, v20
	v_add_f16_e32 v31, v31, v37
	v_add_f16_e32 v34, v34, v40
	v_sub_f16_e32 v30, v32, v30
	v_sub_f16_e32 v32, v35, v33
	v_mul_f16_e32 v24, 0x3846, v24
	v_add_f16_e32 v25, v27, v25
	v_mul_f16_e32 v27, 0x3a52, v28
	v_mul_f16_e32 v33, 0x2b26, v36
	;; [unrolled: 1-line block ×5, first 2 shown]
	v_add_f16_e32 v20, v20, v21
	v_mul_f16_e32 v21, 0xbb00, v29
	v_mul_f16_e32 v39, 0xbb00, v22
	v_add_f16_e32 v26, v26, v31
	v_add_f16_e32 v17, v17, v34
	v_fmamk_f16 v40, v23, 0xb574, v24
	v_fmamk_f16 v28, v28, 0x3a52, v33
	;; [unrolled: 1-line block ×4, first 2 shown]
	v_fma_f16 v21, v23, 0x3574, -v21
	v_fma_f16 v23, v30, 0xb9e0, -v27
	;; [unrolled: 1-line block ×7, first 2 shown]
	v_fmamk_f16 v31, v31, 0xbcab, v26
	v_fmamk_f16 v32, v34, 0xbcab, v17
	v_fma_f16 v30, v30, 0x39e0, -v33
	v_fmac_f16_e32 v40, 0xb70e, v25
	v_fmac_f16_e32 v42, 0xb70e, v20
	;; [unrolled: 1-line block ×6, first 2 shown]
	v_add_f16_e32 v20, v28, v31
	v_add_f16_e32 v25, v38, v32
	;; [unrolled: 1-line block ×3, first 2 shown]
	v_pack_b32_f16 v17, v17, v26
	v_add_f16_e32 v26, v27, v32
	v_add_f16_e32 v27, v30, v31
	;; [unrolled: 1-line block ×5, first 2 shown]
	v_sub_f16_e32 v21, v23, v21
	v_sub_f16_e32 v20, v20, v40
	v_add_f16_e32 v23, v42, v25
	v_sub_f16_e32 v30, v25, v42
	v_add_f16_e32 v25, v35, v26
	;; [unrolled: 2-line block ×4, first 2 shown]
	v_sub_f16_e32 v26, v26, v35
	v_pack_b32_f16 v20, v23, v20
	v_pack_b32_f16 v21, v25, v21
	;; [unrolled: 1-line block ×6, first 2 shown]
	s_clause 0x6
	global_store_b32 v[2:3], v17, off
	global_store_b32 v[2:3], v20, off offset:384
	global_store_b32 v[2:3], v21, off offset:768
	;; [unrolled: 1-line block ×6, first 2 shown]
	s_and_b32 exec_lo, exec_lo, s0
	s_cbranch_execz .LBB0_18
; %bb.17:
	v_subrev_nc_u32_e32 v0, 40, v0
	s_delay_alu instid0(VALU_DEP_1) | instskip(NEXT) | instid1(VALU_DEP_1)
	v_cndmask_b32_e64 v0, v0, v4, s0
	v_mul_i32_i24_e32 v0, 6, v0
	s_delay_alu instid0(VALU_DEP_1) | instskip(NEXT) | instid1(VALU_DEP_1)
	v_lshlrev_b64 v[0:1], 2, v[0:1]
	v_add_co_u32 v0, vcc_lo, s4, v0
	s_delay_alu instid0(VALU_DEP_2)
	v_add_co_ci_u32_e32 v1, vcc_lo, s5, v1, vcc_lo
	s_clause 0x1
	global_load_b128 v[20:23], v[0:1], off offset:376
	global_load_b64 v[0:1], v[0:1], off offset:392
	s_waitcnt vmcnt(1)
	v_lshrrev_b32_e32 v4, 16, v20
	v_lshrrev_b32_e32 v17, 16, v21
	s_waitcnt vmcnt(0)
	v_lshrrev_b32_e32 v26, 16, v0
	v_lshrrev_b32_e32 v27, 16, v1
	;; [unrolled: 1-line block ×4, first 2 shown]
	v_mul_f16_e32 v28, v6, v4
	v_mul_f16_e32 v4, v7, v4
	;; [unrolled: 1-line block ×12, first 2 shown]
	v_fmac_f16_e32 v28, v7, v20
	v_fma_f16 v4, v6, v20, -v4
	v_fmac_f16_e32 v29, v10, v21
	v_fma_f16 v6, v15, v21, -v17
	;; [unrolled: 2-line block ×6, first 2 shown]
	v_add_f16_e32 v8, v28, v33
	v_add_f16_e32 v10, v4, v1
	v_sub_f16_e32 v1, v4, v1
	v_add_f16_e32 v4, v29, v32
	v_add_f16_e32 v12, v6, v0
	v_sub_f16_e32 v13, v29, v32
	v_sub_f16_e32 v0, v6, v0
	v_add_f16_e32 v6, v30, v31
	v_add_f16_e32 v15, v7, v5
	v_sub_f16_e32 v16, v31, v30
	;; [unrolled: 4-line block ×3, first 2 shown]
	v_sub_f16_e32 v18, v4, v8
	v_sub_f16_e32 v19, v12, v10
	;; [unrolled: 1-line block ×6, first 2 shown]
	v_add_f16_e32 v20, v16, v13
	v_add_f16_e32 v21, v5, v0
	v_sub_f16_e32 v22, v16, v13
	v_sub_f16_e32 v23, v5, v0
	;; [unrolled: 1-line block ×3, first 2 shown]
	v_add_f16_e32 v6, v6, v7
	v_add_f16_e32 v7, v15, v17
	v_sub_f16_e32 v13, v13, v11
	v_sub_f16_e32 v16, v11, v16
	v_sub_f16_e32 v5, v1, v5
	v_add_f16_e32 v11, v20, v11
	v_add_f16_e32 v1, v21, v1
	v_mul_f16_e32 v8, 0x3a52, v8
	v_mul_f16_e32 v10, 0x3a52, v10
	;; [unrolled: 1-line block ×7, first 2 shown]
	v_add_f16_e32 v9, v9, v6
	v_add_f16_e32 v14, v14, v7
	v_mul_f16_e32 v22, 0xbb00, v13
	v_fmamk_f16 v4, v4, 0x2b26, v8
	v_fmamk_f16 v12, v12, 0x2b26, v10
	v_fma_f16 v15, v18, 0x39e0, -v15
	v_fma_f16 v17, v19, 0x39e0, -v17
	;; [unrolled: 1-line block ×4, first 2 shown]
	v_fmamk_f16 v18, v16, 0xb574, v20
	v_fmamk_f16 v19, v5, 0xb574, v21
	v_fma_f16 v0, v0, 0xbb00, -v21
	v_fma_f16 v5, v5, 0x3574, -v23
	v_fmamk_f16 v6, v6, 0xbcab, v9
	v_fmamk_f16 v7, v7, 0xbcab, v14
	v_fma_f16 v13, v13, 0xbb00, -v20
	v_fma_f16 v16, v16, 0x3574, -v22
	v_fmac_f16_e32 v18, 0xb70e, v11
	v_fmac_f16_e32 v19, 0xb70e, v1
	v_fmac_f16_e32 v0, 0xb70e, v1
	v_fmac_f16_e32 v5, 0xb70e, v1
	v_pack_b32_f16 v1, v9, v14
	v_add_f16_e32 v4, v4, v6
	v_add_f16_e32 v9, v12, v7
	v_fmac_f16_e32 v13, 0xb70e, v11
	v_fmac_f16_e32 v16, 0xb70e, v11
	v_add_f16_e32 v11, v15, v6
	v_add_f16_e32 v6, v8, v6
	;; [unrolled: 1-line block ×5, first 2 shown]
	v_sub_f16_e32 v12, v9, v18
	v_add_f16_e32 v14, v5, v6
	v_sub_f16_e32 v15, v8, v16
	v_sub_f16_e32 v17, v11, v0
	v_add_f16_e32 v20, v13, v7
	v_add_f16_e32 v0, v0, v11
	v_sub_f16_e32 v7, v7, v13
	v_sub_f16_e32 v5, v6, v5
	v_add_f16_e32 v6, v16, v8
	v_sub_f16_e32 v4, v4, v19
	v_add_f16_e32 v8, v18, v9
	v_pack_b32_f16 v9, v10, v12
	v_pack_b32_f16 v10, v14, v15
	;; [unrolled: 1-line block ×6, first 2 shown]
	s_clause 0x6
	global_store_b32 v[2:3], v1, off offset:224
	global_store_b32 v[2:3], v9, off offset:608
	;; [unrolled: 1-line block ×7, first 2 shown]
.LBB0_18:
	s_nop 0
	s_sendmsg sendmsg(MSG_DEALLOC_VGPRS)
	s_endpgm
	.section	.rodata,"a",@progbits
	.p2align	6, 0x0
	.amdhsa_kernel fft_rtc_back_len672_factors_2_2_2_2_2_3_7_wgs_56_tpt_56_halfLds_half_ip_CI_unitstride_sbrr_dirReg
		.amdhsa_group_segment_fixed_size 0
		.amdhsa_private_segment_fixed_size 0
		.amdhsa_kernarg_size 88
		.amdhsa_user_sgpr_count 15
		.amdhsa_user_sgpr_dispatch_ptr 0
		.amdhsa_user_sgpr_queue_ptr 0
		.amdhsa_user_sgpr_kernarg_segment_ptr 1
		.amdhsa_user_sgpr_dispatch_id 0
		.amdhsa_user_sgpr_private_segment_size 0
		.amdhsa_wavefront_size32 1
		.amdhsa_uses_dynamic_stack 0
		.amdhsa_enable_private_segment 0
		.amdhsa_system_sgpr_workgroup_id_x 1
		.amdhsa_system_sgpr_workgroup_id_y 0
		.amdhsa_system_sgpr_workgroup_id_z 0
		.amdhsa_system_sgpr_workgroup_info 0
		.amdhsa_system_vgpr_workitem_id 0
		.amdhsa_next_free_vgpr 62
		.amdhsa_next_free_sgpr 21
		.amdhsa_reserve_vcc 1
		.amdhsa_float_round_mode_32 0
		.amdhsa_float_round_mode_16_64 0
		.amdhsa_float_denorm_mode_32 3
		.amdhsa_float_denorm_mode_16_64 3
		.amdhsa_dx10_clamp 1
		.amdhsa_ieee_mode 1
		.amdhsa_fp16_overflow 0
		.amdhsa_workgroup_processor_mode 1
		.amdhsa_memory_ordered 1
		.amdhsa_forward_progress 0
		.amdhsa_shared_vgpr_count 0
		.amdhsa_exception_fp_ieee_invalid_op 0
		.amdhsa_exception_fp_denorm_src 0
		.amdhsa_exception_fp_ieee_div_zero 0
		.amdhsa_exception_fp_ieee_overflow 0
		.amdhsa_exception_fp_ieee_underflow 0
		.amdhsa_exception_fp_ieee_inexact 0
		.amdhsa_exception_int_div_zero 0
	.end_amdhsa_kernel
	.text
.Lfunc_end0:
	.size	fft_rtc_back_len672_factors_2_2_2_2_2_3_7_wgs_56_tpt_56_halfLds_half_ip_CI_unitstride_sbrr_dirReg, .Lfunc_end0-fft_rtc_back_len672_factors_2_2_2_2_2_3_7_wgs_56_tpt_56_halfLds_half_ip_CI_unitstride_sbrr_dirReg
                                        ; -- End function
	.section	.AMDGPU.csdata,"",@progbits
; Kernel info:
; codeLenInByte = 8600
; NumSgprs: 23
; NumVgprs: 62
; ScratchSize: 0
; MemoryBound: 0
; FloatMode: 240
; IeeeMode: 1
; LDSByteSize: 0 bytes/workgroup (compile time only)
; SGPRBlocks: 2
; VGPRBlocks: 7
; NumSGPRsForWavesPerEU: 23
; NumVGPRsForWavesPerEU: 62
; Occupancy: 16
; WaveLimiterHint : 1
; COMPUTE_PGM_RSRC2:SCRATCH_EN: 0
; COMPUTE_PGM_RSRC2:USER_SGPR: 15
; COMPUTE_PGM_RSRC2:TRAP_HANDLER: 0
; COMPUTE_PGM_RSRC2:TGID_X_EN: 1
; COMPUTE_PGM_RSRC2:TGID_Y_EN: 0
; COMPUTE_PGM_RSRC2:TGID_Z_EN: 0
; COMPUTE_PGM_RSRC2:TIDIG_COMP_CNT: 0
	.text
	.p2alignl 7, 3214868480
	.fill 96, 4, 3214868480
	.type	__hip_cuid_abb9a26f1e5e9663,@object ; @__hip_cuid_abb9a26f1e5e9663
	.section	.bss,"aw",@nobits
	.globl	__hip_cuid_abb9a26f1e5e9663
__hip_cuid_abb9a26f1e5e9663:
	.byte	0                               ; 0x0
	.size	__hip_cuid_abb9a26f1e5e9663, 1

	.ident	"AMD clang version 19.0.0git (https://github.com/RadeonOpenCompute/llvm-project roc-6.4.0 25133 c7fe45cf4b819c5991fe208aaa96edf142730f1d)"
	.section	".note.GNU-stack","",@progbits
	.addrsig
	.addrsig_sym __hip_cuid_abb9a26f1e5e9663
	.amdgpu_metadata
---
amdhsa.kernels:
  - .args:
      - .actual_access:  read_only
        .address_space:  global
        .offset:         0
        .size:           8
        .value_kind:     global_buffer
      - .offset:         8
        .size:           8
        .value_kind:     by_value
      - .actual_access:  read_only
        .address_space:  global
        .offset:         16
        .size:           8
        .value_kind:     global_buffer
      - .actual_access:  read_only
        .address_space:  global
        .offset:         24
        .size:           8
        .value_kind:     global_buffer
      - .offset:         32
        .size:           8
        .value_kind:     by_value
      - .actual_access:  read_only
        .address_space:  global
        .offset:         40
        .size:           8
        .value_kind:     global_buffer
      - .actual_access:  read_only
        .address_space:  global
        .offset:         48
        .size:           8
        .value_kind:     global_buffer
      - .offset:         56
        .size:           4
        .value_kind:     by_value
      - .actual_access:  read_only
        .address_space:  global
        .offset:         64
        .size:           8
        .value_kind:     global_buffer
      - .actual_access:  read_only
        .address_space:  global
        .offset:         72
        .size:           8
        .value_kind:     global_buffer
      - .address_space:  global
        .offset:         80
        .size:           8
        .value_kind:     global_buffer
    .group_segment_fixed_size: 0
    .kernarg_segment_align: 8
    .kernarg_segment_size: 88
    .language:       OpenCL C
    .language_version:
      - 2
      - 0
    .max_flat_workgroup_size: 56
    .name:           fft_rtc_back_len672_factors_2_2_2_2_2_3_7_wgs_56_tpt_56_halfLds_half_ip_CI_unitstride_sbrr_dirReg
    .private_segment_fixed_size: 0
    .sgpr_count:     23
    .sgpr_spill_count: 0
    .symbol:         fft_rtc_back_len672_factors_2_2_2_2_2_3_7_wgs_56_tpt_56_halfLds_half_ip_CI_unitstride_sbrr_dirReg.kd
    .uniform_work_group_size: 1
    .uses_dynamic_stack: false
    .vgpr_count:     62
    .vgpr_spill_count: 0
    .wavefront_size: 32
    .workgroup_processor_mode: 1
amdhsa.target:   amdgcn-amd-amdhsa--gfx1100
amdhsa.version:
  - 1
  - 2
...

	.end_amdgpu_metadata
